;; amdgpu-corpus repo=ROCm/rocFFT kind=compiled arch=gfx906 opt=O3
	.text
	.amdgcn_target "amdgcn-amd-amdhsa--gfx906"
	.amdhsa_code_object_version 6
	.protected	fft_rtc_fwd_len507_factors_13_3_13_wgs_117_tpt_39_halfLds_half_ip_CI_sbrr_dirReg ; -- Begin function fft_rtc_fwd_len507_factors_13_3_13_wgs_117_tpt_39_halfLds_half_ip_CI_sbrr_dirReg
	.globl	fft_rtc_fwd_len507_factors_13_3_13_wgs_117_tpt_39_halfLds_half_ip_CI_sbrr_dirReg
	.p2align	8
	.type	fft_rtc_fwd_len507_factors_13_3_13_wgs_117_tpt_39_halfLds_half_ip_CI_sbrr_dirReg,@function
fft_rtc_fwd_len507_factors_13_3_13_wgs_117_tpt_39_halfLds_half_ip_CI_sbrr_dirReg: ; @fft_rtc_fwd_len507_factors_13_3_13_wgs_117_tpt_39_halfLds_half_ip_CI_sbrr_dirReg
; %bb.0:
	s_load_dwordx2 s[14:15], s[4:5], 0x18
	s_load_dwordx4 s[8:11], s[4:5], 0x0
	s_load_dwordx2 s[12:13], s[4:5], 0x50
	v_mul_u32_u24_e32 v1, 0x691, v0
	v_lshrrev_b32_e32 v1, 16, v1
	s_waitcnt lgkmcnt(0)
	s_load_dwordx2 s[2:3], s[14:15], 0x0
	v_mad_u64_u32 v[2:3], s[0:1], s6, 3, v[1:2]
	v_mov_b32_e32 v6, 0
	v_cmp_lt_u64_e64 s[0:1], s[10:11], 2
	v_mov_b32_e32 v3, v6
	v_mov_b32_e32 v4, 0
	;; [unrolled: 1-line block ×3, first 2 shown]
	s_and_b64 vcc, exec, s[0:1]
	v_mov_b32_e32 v5, 0
	v_mov_b32_e32 v10, v2
	s_cbranch_vccnz .LBB0_8
; %bb.1:
	s_load_dwordx2 s[0:1], s[4:5], 0x10
	s_add_u32 s6, s14, 8
	s_addc_u32 s7, s15, 0
	v_mov_b32_e32 v4, 0
	v_mov_b32_e32 v9, v3
	s_waitcnt lgkmcnt(0)
	s_add_u32 s18, s0, 8
	s_mov_b64 s[16:17], 1
	v_mov_b32_e32 v5, 0
	s_addc_u32 s19, s1, 0
	v_mov_b32_e32 v8, v2
.LBB0_2:                                ; =>This Inner Loop Header: Depth=1
	s_load_dwordx2 s[20:21], s[18:19], 0x0
                                        ; implicit-def: $vgpr10_vgpr11
	s_waitcnt lgkmcnt(0)
	v_or_b32_e32 v7, s21, v9
	v_cmp_ne_u64_e32 vcc, 0, v[6:7]
	s_and_saveexec_b64 s[0:1], vcc
	s_xor_b64 s[22:23], exec, s[0:1]
	s_cbranch_execz .LBB0_4
; %bb.3:                                ;   in Loop: Header=BB0_2 Depth=1
	v_cvt_f32_u32_e32 v1, s20
	v_cvt_f32_u32_e32 v3, s21
	s_sub_u32 s0, 0, s20
	s_subb_u32 s1, 0, s21
	v_mac_f32_e32 v1, 0x4f800000, v3
	v_rcp_f32_e32 v1, v1
	v_mul_f32_e32 v1, 0x5f7ffffc, v1
	v_mul_f32_e32 v3, 0x2f800000, v1
	v_trunc_f32_e32 v3, v3
	v_mac_f32_e32 v1, 0xcf800000, v3
	v_cvt_u32_f32_e32 v3, v3
	v_cvt_u32_f32_e32 v1, v1
	v_mul_lo_u32 v7, s0, v3
	v_mul_hi_u32 v10, s0, v1
	v_mul_lo_u32 v12, s1, v1
	v_mul_lo_u32 v11, s0, v1
	v_add_u32_e32 v7, v10, v7
	v_add_u32_e32 v7, v7, v12
	v_mul_hi_u32 v10, v1, v11
	v_mul_lo_u32 v12, v1, v7
	v_mul_hi_u32 v14, v1, v7
	v_mul_hi_u32 v13, v3, v11
	v_mul_lo_u32 v11, v3, v11
	v_mul_hi_u32 v15, v3, v7
	v_add_co_u32_e32 v10, vcc, v10, v12
	v_addc_co_u32_e32 v12, vcc, 0, v14, vcc
	v_mul_lo_u32 v7, v3, v7
	v_add_co_u32_e32 v10, vcc, v10, v11
	v_addc_co_u32_e32 v10, vcc, v12, v13, vcc
	v_addc_co_u32_e32 v11, vcc, 0, v15, vcc
	v_add_co_u32_e32 v7, vcc, v10, v7
	v_addc_co_u32_e32 v10, vcc, 0, v11, vcc
	v_add_co_u32_e32 v1, vcc, v1, v7
	v_addc_co_u32_e32 v3, vcc, v3, v10, vcc
	v_mul_lo_u32 v7, s0, v3
	v_mul_hi_u32 v10, s0, v1
	v_mul_lo_u32 v11, s1, v1
	v_mul_lo_u32 v12, s0, v1
	v_add_u32_e32 v7, v10, v7
	v_add_u32_e32 v7, v7, v11
	v_mul_lo_u32 v13, v1, v7
	v_mul_hi_u32 v14, v1, v12
	v_mul_hi_u32 v15, v1, v7
	;; [unrolled: 1-line block ×3, first 2 shown]
	v_mul_lo_u32 v12, v3, v12
	v_mul_hi_u32 v10, v3, v7
	v_add_co_u32_e32 v13, vcc, v14, v13
	v_addc_co_u32_e32 v14, vcc, 0, v15, vcc
	v_mul_lo_u32 v7, v3, v7
	v_add_co_u32_e32 v12, vcc, v13, v12
	v_addc_co_u32_e32 v11, vcc, v14, v11, vcc
	v_addc_co_u32_e32 v10, vcc, 0, v10, vcc
	v_add_co_u32_e32 v7, vcc, v11, v7
	v_addc_co_u32_e32 v10, vcc, 0, v10, vcc
	v_add_co_u32_e32 v1, vcc, v1, v7
	v_addc_co_u32_e32 v3, vcc, v3, v10, vcc
	v_mad_u64_u32 v[10:11], s[0:1], v8, v3, 0
	v_mul_hi_u32 v7, v8, v1
	v_mad_u64_u32 v[12:13], s[0:1], v9, v3, 0
	v_add_co_u32_e32 v7, vcc, v7, v10
	v_addc_co_u32_e32 v14, vcc, 0, v11, vcc
	v_mad_u64_u32 v[10:11], s[0:1], v9, v1, 0
	v_add_co_u32_e32 v1, vcc, v7, v10
	v_addc_co_u32_e32 v1, vcc, v14, v11, vcc
	v_addc_co_u32_e32 v3, vcc, 0, v13, vcc
	v_add_co_u32_e32 v1, vcc, v1, v12
	v_addc_co_u32_e32 v3, vcc, 0, v3, vcc
	v_mul_lo_u32 v7, s21, v1
	v_mul_lo_u32 v12, s20, v3
	v_mad_u64_u32 v[10:11], s[0:1], s20, v1, 0
	v_add3_u32 v7, v11, v12, v7
	v_sub_u32_e32 v11, v9, v7
	v_mov_b32_e32 v12, s21
	v_sub_co_u32_e32 v10, vcc, v8, v10
	v_subb_co_u32_e64 v11, s[0:1], v11, v12, vcc
	v_subrev_co_u32_e64 v12, s[0:1], s20, v10
	v_subbrev_co_u32_e64 v11, s[0:1], 0, v11, s[0:1]
	v_cmp_le_u32_e64 s[0:1], s21, v11
	v_cndmask_b32_e64 v13, 0, -1, s[0:1]
	v_cmp_le_u32_e64 s[0:1], s20, v12
	v_cndmask_b32_e64 v12, 0, -1, s[0:1]
	v_cmp_eq_u32_e64 s[0:1], s21, v11
	v_cndmask_b32_e64 v11, v13, v12, s[0:1]
	v_add_co_u32_e64 v12, s[0:1], 2, v1
	v_addc_co_u32_e64 v13, s[0:1], 0, v3, s[0:1]
	v_add_co_u32_e64 v14, s[0:1], 1, v1
	v_addc_co_u32_e64 v15, s[0:1], 0, v3, s[0:1]
	v_subb_co_u32_e32 v7, vcc, v9, v7, vcc
	v_cmp_ne_u32_e64 s[0:1], 0, v11
	v_cmp_le_u32_e32 vcc, s21, v7
	v_cndmask_b32_e64 v11, v15, v13, s[0:1]
	v_cndmask_b32_e64 v13, 0, -1, vcc
	v_cmp_le_u32_e32 vcc, s20, v10
	v_cndmask_b32_e64 v10, 0, -1, vcc
	v_cmp_eq_u32_e32 vcc, s21, v7
	v_cndmask_b32_e32 v7, v13, v10, vcc
	v_cmp_ne_u32_e32 vcc, 0, v7
	v_cndmask_b32_e32 v11, v3, v11, vcc
	v_cndmask_b32_e64 v3, v14, v12, s[0:1]
	v_cndmask_b32_e32 v10, v1, v3, vcc
.LBB0_4:                                ;   in Loop: Header=BB0_2 Depth=1
	s_andn2_saveexec_b64 s[0:1], s[22:23]
	s_cbranch_execz .LBB0_6
; %bb.5:                                ;   in Loop: Header=BB0_2 Depth=1
	v_cvt_f32_u32_e32 v1, s20
	s_sub_i32 s22, 0, s20
	v_mov_b32_e32 v11, v6
	v_rcp_iflag_f32_e32 v1, v1
	v_mul_f32_e32 v1, 0x4f7ffffe, v1
	v_cvt_u32_f32_e32 v1, v1
	v_mul_lo_u32 v3, s22, v1
	v_mul_hi_u32 v3, v1, v3
	v_add_u32_e32 v1, v1, v3
	v_mul_hi_u32 v1, v8, v1
	v_mul_lo_u32 v3, v1, s20
	v_add_u32_e32 v7, 1, v1
	v_sub_u32_e32 v3, v8, v3
	v_subrev_u32_e32 v10, s20, v3
	v_cmp_le_u32_e32 vcc, s20, v3
	v_cndmask_b32_e32 v3, v3, v10, vcc
	v_cndmask_b32_e32 v1, v1, v7, vcc
	v_add_u32_e32 v7, 1, v1
	v_cmp_le_u32_e32 vcc, s20, v3
	v_cndmask_b32_e32 v10, v1, v7, vcc
.LBB0_6:                                ;   in Loop: Header=BB0_2 Depth=1
	s_or_b64 exec, exec, s[0:1]
	v_mul_lo_u32 v1, v11, s20
	v_mul_lo_u32 v3, v10, s21
	v_mad_u64_u32 v[12:13], s[0:1], v10, s20, 0
	s_load_dwordx2 s[0:1], s[6:7], 0x0
	s_add_u32 s16, s16, 1
	v_add3_u32 v1, v13, v3, v1
	v_sub_co_u32_e32 v3, vcc, v8, v12
	v_subb_co_u32_e32 v1, vcc, v9, v1, vcc
	s_waitcnt lgkmcnt(0)
	v_mul_lo_u32 v1, s0, v1
	v_mul_lo_u32 v7, s1, v3
	v_mad_u64_u32 v[4:5], s[0:1], s0, v3, v[4:5]
	s_addc_u32 s17, s17, 0
	s_add_u32 s6, s6, 8
	v_add3_u32 v5, v7, v5, v1
	v_mov_b32_e32 v7, s10
	v_mov_b32_e32 v8, s11
	s_addc_u32 s7, s7, 0
	v_cmp_ge_u64_e32 vcc, s[16:17], v[7:8]
	s_add_u32 s18, s18, 8
	s_addc_u32 s19, s19, 0
	s_cbranch_vccnz .LBB0_8
; %bb.7:                                ;   in Loop: Header=BB0_2 Depth=1
	v_mov_b32_e32 v8, v10
	v_mov_b32_e32 v9, v11
	s_branch .LBB0_2
.LBB0_8:
	s_lshl_b64 s[0:1], s[10:11], 3
	s_add_u32 s0, s14, s0
	s_addc_u32 s1, s15, s1
	s_load_dwordx2 s[6:7], s[0:1], 0x0
	s_load_dwordx2 s[10:11], s[4:5], 0x20
                                        ; implicit-def: $vgpr9
                                        ; implicit-def: $vgpr7
	s_waitcnt lgkmcnt(0)
	v_mad_u64_u32 v[3:4], s[0:1], s6, v10, v[4:5]
	s_mov_b32 s0, 0x6906907
	v_mul_lo_u32 v1, s6, v11
	v_mul_lo_u32 v6, s7, v10
	v_mul_hi_u32 v5, v0, s0
	v_cmp_gt_u64_e32 vcc, s[10:11], v[10:11]
	v_cmp_le_u64_e64 s[0:1], s[10:11], v[10:11]
	v_add3_u32 v4, v6, v4, v1
	v_mul_u32_u24_e32 v1, 39, v5
	v_sub_u32_e32 v6, v0, v1
	v_add_u32_e32 v8, 39, v6
                                        ; implicit-def: $sgpr6
                                        ; implicit-def: $vgpr10
	s_and_saveexec_b64 s[4:5], s[0:1]
	s_xor_b64 s[0:1], exec, s[4:5]
; %bb.9:
	v_add_u32_e32 v8, 39, v6
	v_add_u32_e32 v10, 0x4e, v6
	;; [unrolled: 1-line block ×4, first 2 shown]
	s_mov_b32 s6, 0
; %bb.10:
	s_or_saveexec_b64 s[4:5], s[0:1]
	v_lshlrev_b64 v[0:1], 2, v[3:4]
	v_mov_b32_e32 v5, s6
	v_mov_b32_e32 v19, s6
                                        ; implicit-def: $vgpr31
                                        ; implicit-def: $vgpr16
                                        ; implicit-def: $vgpr33
                                        ; implicit-def: $vgpr22
                                        ; implicit-def: $vgpr34
                                        ; implicit-def: $vgpr23
                                        ; implicit-def: $vgpr35
                                        ; implicit-def: $vgpr24
                                        ; implicit-def: $vgpr37
                                        ; implicit-def: $vgpr25
                                        ; implicit-def: $vgpr38
                                        ; implicit-def: $vgpr26
                                        ; implicit-def: $vgpr53
                                        ; implicit-def: $vgpr36
                                        ; implicit-def: $vgpr50
                                        ; implicit-def: $vgpr32
                                        ; implicit-def: $vgpr49
                                        ; implicit-def: $vgpr30
                                        ; implicit-def: $vgpr48
                                        ; implicit-def: $vgpr29
                                        ; implicit-def: $vgpr46
                                        ; implicit-def: $vgpr28
                                        ; implicit-def: $vgpr44
                                        ; implicit-def: $vgpr27
	s_xor_b64 exec, exec, s[4:5]
	s_cbranch_execz .LBB0_12
; %bb.11:
	v_mad_u64_u32 v[3:4], s[0:1], s2, v6, 0
	v_mad_u64_u32 v[11:12], s[0:1], s2, v8, 0
	;; [unrolled: 1-line block ×3, first 2 shown]
	v_mov_b32_e32 v5, v12
	v_mad_u64_u32 v[9:10], s[0:1], s3, v8, v[5:6]
	v_add_u32_e32 v10, 0x4e, v6
	v_mad_u64_u32 v[13:14], s[0:1], s2, v10, 0
	v_mov_b32_e32 v7, s13
	v_add_co_u32_e64 v44, s[0:1], s12, v0
	v_mov_b32_e32 v5, v14
	v_addc_co_u32_e64 v45, s[0:1], v7, v1, s[0:1]
	v_mov_b32_e32 v12, v9
	v_mad_u64_u32 v[14:15], s[0:1], s3, v10, v[5:6]
	v_add_u32_e32 v9, 0x75, v6
	v_mad_u64_u32 v[15:16], s[0:1], s2, v9, 0
	v_lshlrev_b64 v[11:12], 2, v[11:12]
	v_add_u32_e32 v7, 0x9c, v6
	v_add_co_u32_e64 v11, s[0:1], v44, v11
	v_mov_b32_e32 v5, v16
	v_addc_co_u32_e64 v12, s[0:1], v45, v12, s[0:1]
	v_mad_u64_u32 v[16:17], s[0:1], s3, v9, v[5:6]
	v_mad_u64_u32 v[17:18], s[0:1], s2, v7, 0
	v_lshlrev_b64 v[13:14], 2, v[13:14]
	v_add_u32_e32 v21, 0xc3, v6
	v_add_co_u32_e64 v13, s[0:1], v44, v13
	v_mov_b32_e32 v5, v18
	v_addc_co_u32_e64 v14, s[0:1], v45, v14, s[0:1]
	v_mad_u64_u32 v[18:19], s[0:1], s3, v7, v[5:6]
	v_mad_u64_u32 v[19:20], s[0:1], s2, v21, 0
	v_lshlrev_b64 v[15:16], 2, v[15:16]
	v_lshlrev_b64 v[3:4], 2, v[3:4]
	v_add_co_u32_e64 v28, s[0:1], v44, v15
	v_mov_b32_e32 v5, v20
	v_addc_co_u32_e64 v29, s[0:1], v45, v16, s[0:1]
	v_lshlrev_b64 v[15:16], 2, v[17:18]
	v_mad_u64_u32 v[17:18], s[0:1], s3, v21, v[5:6]
	v_add_u32_e32 v18, 0xea, v6
	v_mad_u64_u32 v[21:22], s[0:1], s2, v18, 0
	v_add_co_u32_e64 v30, s[0:1], v44, v15
	v_mov_b32_e32 v20, v17
	v_mov_b32_e32 v5, v22
	v_addc_co_u32_e64 v31, s[0:1], v45, v16, s[0:1]
	v_lshlrev_b64 v[15:16], 2, v[19:20]
	v_mad_u64_u32 v[17:18], s[0:1], s3, v18, v[5:6]
	v_add_u32_e32 v20, 0x111, v6
	v_mad_u64_u32 v[18:19], s[0:1], s2, v20, 0
	v_add_co_u32_e64 v32, s[0:1], v44, v15
	v_mov_b32_e32 v5, v19
	v_addc_co_u32_e64 v33, s[0:1], v45, v16, s[0:1]
	v_mov_b32_e32 v22, v17
	v_mad_u64_u32 v[19:20], s[0:1], s3, v20, v[5:6]
	v_add_u32_e32 v17, 0x138, v6
	v_lshlrev_b64 v[15:16], 2, v[21:22]
	v_mad_u64_u32 v[20:21], s[0:1], s2, v17, 0
	v_add_co_u32_e64 v34, s[0:1], v44, v15
	v_mov_b32_e32 v5, v21
	v_addc_co_u32_e64 v35, s[0:1], v45, v16, s[0:1]
	v_lshlrev_b64 v[15:16], 2, v[18:19]
	v_mad_u64_u32 v[17:18], s[0:1], s3, v17, v[5:6]
	v_add_u32_e32 v22, 0x15f, v6
	v_mad_u64_u32 v[18:19], s[0:1], s2, v22, 0
	v_add_co_u32_e64 v36, s[0:1], v44, v15
	v_mov_b32_e32 v21, v17
	v_mov_b32_e32 v5, v19
	v_addc_co_u32_e64 v37, s[0:1], v45, v16, s[0:1]
	v_lshlrev_b64 v[15:16], 2, v[20:21]
	v_mad_u64_u32 v[19:20], s[0:1], s3, v22, v[5:6]
	v_add_u32_e32 v17, 0x186, v6
	v_mad_u64_u32 v[20:21], s[0:1], s2, v17, 0
	v_add_co_u32_e64 v38, s[0:1], v44, v15
	v_mov_b32_e32 v5, v21
	v_addc_co_u32_e64 v39, s[0:1], v45, v16, s[0:1]
	v_lshlrev_b64 v[15:16], 2, v[18:19]
	v_mad_u64_u32 v[17:18], s[0:1], s3, v17, v[5:6]
	v_add_co_u32_e64 v18, s[0:1], v44, v15
	v_mov_b32_e32 v21, v17
	v_add_u32_e32 v17, 0x1ad, v6
	v_addc_co_u32_e64 v19, s[0:1], v45, v16, s[0:1]
	v_lshlrev_b64 v[15:16], 2, v[20:21]
	v_mad_u64_u32 v[20:21], s[0:1], s2, v17, 0
	v_add_co_u32_e64 v40, s[0:1], v44, v15
	v_mov_b32_e32 v5, v21
	v_addc_co_u32_e64 v41, s[0:1], v45, v16, s[0:1]
	v_mad_u64_u32 v[15:16], s[0:1], s3, v17, v[5:6]
	v_add_u32_e32 v17, 0x1d4, v6
	v_mad_u64_u32 v[42:43], s[0:1], s2, v17, 0
	global_load_dword v16, v[11:12], off
	global_load_dword v22, v[13:14], off
	;; [unrolled: 1-line block ×7, first 2 shown]
	v_mov_b32_e32 v21, v15
	v_mov_b32_e32 v5, v43
	v_mad_u64_u32 v[13:14], s[0:1], s3, v17, v[5:6]
	v_lshlrev_b64 v[11:12], 2, v[20:21]
	v_mov_b32_e32 v5, v6
	v_mov_b32_e32 v43, v13
	v_add_co_u32_e64 v11, s[0:1], v44, v11
	v_lshlrev_b64 v[13:14], 2, v[42:43]
	v_addc_co_u32_e64 v12, s[0:1], v45, v12, s[0:1]
	v_add_co_u32_e64 v13, s[0:1], v44, v13
	v_addc_co_u32_e64 v14, s[0:1], v45, v14, s[0:1]
	v_add_co_u32_e64 v3, s[0:1], v44, v3
	global_load_dword v28, v[38:39], off
	global_load_dword v29, v[18:19], off
	global_load_dword v30, v[40:41], off
	global_load_dword v32, v[11:12], off
	global_load_dword v36, v[13:14], off
	v_addc_co_u32_e64 v4, s[0:1], v45, v4, s[0:1]
	global_load_dword v19, v[3:4], off
	s_waitcnt vmcnt(12)
	v_lshrrev_b32_e32 v31, 16, v16
	s_waitcnt vmcnt(11)
	v_lshrrev_b32_e32 v33, 16, v22
	;; [unrolled: 2-line block ×12, first 2 shown]
.LBB0_12:
	s_or_b64 exec, exec, s[4:5]
	s_mov_b32 s0, 0xaaaaaaab
	v_mul_hi_u32 v3, v2, s0
	v_add_f16_e32 v4, v16, v36
	s_mov_b32 s6, 0x388b3b15
	v_sub_f16_e32 v15, v31, v53
	v_lshrrev_b32_e32 v3, 1, v3
	v_lshl_add_u32 v3, v3, 1, v3
	v_add_f16_e32 v13, v22, v32
	v_sub_u32_e32 v2, v2, v3
	v_pk_mul_f16 v3, v4, s6 op_sel_hi:[0,1]
	s_mov_b32 s17, 0xba95b770
	s_mov_b32 s7, 0xb5ac388b
	v_pk_fma_f16 v11, v15, s17, v3 op_sel_hi:[0,1,1] neg_lo:[1,0,0] neg_hi:[1,0,0]
	s_mov_b32 s19, 0xbb7bba95
	v_sub_f16_e32 v17, v33, v50
	v_pk_mul_f16 v18, v13, s7 op_sel_hi:[0,1]
	s_mov_b32 s10, 0xbbc42fb7
	v_add_f16_e32 v14, v23, v30
	s_waitcnt vmcnt(0)
	v_pk_add_f16 v11, v11, v19 op_sel_hi:[1,0]
	v_pk_fma_f16 v12, v17, s19, v18 op_sel_hi:[0,1,1] neg_lo:[1,0,0] neg_hi:[1,0,0]
	s_mov_b32 s22, 0xb3a8bbf1
	v_sub_f16_e32 v20, v34, v49
	v_pk_mul_f16 v21, v14, s10 op_sel_hi:[0,1]
	s_mov_b32 s14, 0xb9fdb5ac
	v_add_f16_e32 v39, v24, v29
	v_pk_add_f16 v11, v12, v11
	v_pk_fma_f16 v12, v20, s22, v21 op_sel_hi:[0,1,1] neg_lo:[1,0,0] neg_hi:[1,0,0]
	s_mov_b32 s26, 0x394ebb7b
	v_sub_f16_e32 v40, v35, v48
	v_pk_mul_f16 v41, v39, s14 op_sel_hi:[0,1]
	s_mov_b32 s18, 0x2fb7b9fd
	v_add_f16_e32 v42, v25, v28
	v_pk_add_f16 v11, v12, v11
	v_pk_fma_f16 v12, v40, s26, v41 op_sel_hi:[0,1,1] neg_lo:[1,0,0] neg_hi:[1,0,0]
	s_mov_b32 s31, 0x3bf1b94e
	v_sub_f16_e32 v43, v37, v46
	v_pk_mul_f16 v45, v42, s18 op_sel_hi:[0,1]
	s_mov_b32 s11, 0xb5ac2fb7
	v_pk_add_f16 v11, v12, v11
	v_pk_fma_f16 v12, v43, s31, v45 op_sel_hi:[0,1,1] neg_lo:[1,0,0] neg_hi:[1,0,0]
	s_mov_b32 s27, 0xbb7bbbf1
	v_pk_mul_f16 v47, v4, s11 op_sel_hi:[0,1]
	s_mov_b32 s15, 0xb9fdbbc4
	v_pk_add_f16 v11, v12, v11
	v_pk_fma_f16 v12, v15, s27, v47 op_sel_hi:[0,1,1] neg_lo:[1,0,0] neg_hi:[1,0,0]
	s_mov_b32 s30, 0x394eb3a8
	v_pk_mul_f16 v51, v13, s15 op_sel_hi:[0,1]
	v_pk_add_f16 v12, v12, v19 op_sel_hi:[1,0]
	v_pk_fma_f16 v52, v17, s30, v51 op_sel_hi:[0,1,1] neg_lo:[1,0,0] neg_hi:[1,0,0]
	s_mov_b32 s16, 0x3b15b5ac
	v_pk_add_f16 v12, v52, v12
	s_mov_b32 s34, 0x37703b7b
	v_pk_mul_f16 v52, v14, s16 op_sel_hi:[0,1]
	v_pk_fma_f16 v54, v20, s34, v52 op_sel_hi:[0,1,1] neg_lo:[1,0,0] neg_hi:[1,0,0]
	s_mov_b32 s20, 0x2fb73b15
	v_pk_add_f16 v12, v54, v12
	s_mov_b32 s36, 0xbbf13770
	v_pk_mul_f16 v54, v39, s20 op_sel_hi:[0,1]
	s_mov_b32 s23, 0xbbc4388b
	v_pk_fma_f16 v55, v40, s36, v54 op_sel_hi:[0,1,1] neg_lo:[1,0,0] neg_hi:[1,0,0]
	s_mov_b32 s37, 0x33a8ba95
	v_pk_mul_f16 v56, v42, s23 op_sel_hi:[0,1]
	v_pk_add_f16 v12, v55, v12
	v_pk_fma_f16 v55, v43, s37, v56 op_sel_hi:[0,1,1] neg_lo:[1,0,0] neg_hi:[1,0,0]
	v_pk_add_f16 v12, v55, v12
	s_mov_b32 s45, 0x3b15bbc4
	s_mov_b32 s28, 0x388bb9fd
	v_add_f16_e32 v55, v26, v27
	s_mov_b32 s46, 0x3770b3a8
	s_mov_b32 s40, 0x3a95b94e
	v_sub_f16_e32 v57, v38, v44
	v_pk_mul_f16 v58, v55, s45 op_sel_hi:[0,1]
	v_pk_mul_f16 v60, v55, s28 op_sel_hi:[0,1]
	s_mov_b32 s21, 0xbbc4b9fd
	v_pk_fma_f16 v59, v57, s46, v58 op_sel_hi:[0,1,1] neg_lo:[1,0,0] neg_hi:[1,0,0]
	v_pk_fma_f16 v61, v57, s40, v60 op_sel_hi:[0,1,1] neg_lo:[1,0,0] neg_hi:[1,0,0]
	v_pk_mul_f16 v4, v4, s21 op_sel_hi:[0,1]
	s_mov_b32 s38, 0xb3a8b94e
	s_mov_b32 s24, 0x3b152fb7
	v_pk_add_f16 v11, v59, v11
	v_pk_add_f16 v12, v61, v12
	v_pk_fma_f16 v59, v15, s38, v4 op_sel_hi:[0,1,1] neg_lo:[1,0,0] neg_hi:[1,0,0]
	v_pk_mul_f16 v61, v13, s24 op_sel_hi:[0,1]
	s_mov_b32 s39, 0x37703bf1
	s_mov_b32 s25, 0xb9fd388b
	v_pk_add_f16 v59, v59, v19 op_sel_hi:[1,0]
	v_pk_fma_f16 v13, v17, s39, v61 op_sel_hi:[0,1,1] neg_lo:[1,0,0] neg_hi:[1,0,0]
	v_pk_mul_f16 v14, v14, s25 op_sel_hi:[0,1]
	s_mov_b32 s41, 0xb94eba95
	s_mov_b32 s29, 0x388bbbc4
	v_pk_add_f16 v13, v13, v59
	v_pk_fma_f16 v59, v20, s41, v14 op_sel_hi:[0,1,1] neg_lo:[1,0,0] neg_hi:[1,0,0]
	v_pk_mul_f16 v39, v39, s29 op_sel_hi:[0,1]
	s_mov_b32 s42, 0x3a9533a8
	s_mov_b32 s33, 0xb5ac3b15
	v_pk_add_f16 v13, v59, v13
	v_pk_fma_f16 v59, v40, s42, v39 op_sel_hi:[0,1,1] neg_lo:[1,0,0] neg_hi:[1,0,0]
	v_pk_mul_f16 v42, v42, s33 op_sel_hi:[0,1]
	s_mov_b32 s43, 0xbb7b3770
	s_mov_b32 s35, 0x2fb7b5ac
	v_pk_add_f16 v13, v59, v13
	v_pk_fma_f16 v59, v43, s43, v42 op_sel_hi:[0,1,1] neg_lo:[1,0,0] neg_hi:[1,0,0]
	v_pk_mul_f16 v55, v55, s35 op_sel_hi:[0,1]
	s_mov_b32 s44, 0x3bf1bb7b
	v_pk_add_f16 v13, v59, v13
	v_pk_fma_f16 v59, v57, s44, v55 op_sel_hi:[0,1,1] neg_lo:[1,0,0] neg_hi:[1,0,0]
	v_pk_fma_f16 v4, v15, s38, v4 op_sel_hi:[0,1,1]
	v_pk_add_f16 v13, v59, v13
	v_pk_add_f16 v4, v4, v19 op_sel_hi:[1,0]
	v_pk_fma_f16 v59, v17, s39, v61 op_sel_hi:[0,1,1]
	v_pk_add_f16 v4, v59, v4
	v_mul_u32_u24_e32 v59, 0x1fb, v2
	v_add_f16_e32 v2, v16, v19
	v_add_f16_e32 v2, v22, v2
	;; [unrolled: 1-line block ×8, first 2 shown]
	v_pk_fma_f16 v14, v20, s41, v14 op_sel_hi:[0,1,1]
	v_add_f16_e32 v2, v29, v2
	v_pk_add_f16 v4, v14, v4
	v_pk_fma_f16 v14, v40, s42, v39 op_sel_hi:[0,1,1]
	v_add_f16_e32 v2, v30, v2
	v_pk_add_f16 v4, v14, v4
	v_pk_fma_f16 v14, v43, s43, v42 op_sel_hi:[0,1,1]
	v_lshl_add_u32 v39, v59, 1, 0
	v_add_f16_e32 v2, v32, v2
	v_pk_add_f16 v4, v14, v4
	v_pk_fma_f16 v14, v57, s44, v55 op_sel_hi:[0,1,1]
	v_mad_u32_u24 v55, v6, 26, v39
	v_add_f16_e32 v2, v36, v2
	v_pk_add_f16 v4, v14, v4
	ds_write_b16 v55, v2
	v_pk_fma_f16 v2, v15, s27, v47 op_sel_hi:[0,1,1]
	v_alignbit_b32 v14, v4, v4, 16
	v_pk_add_f16 v2, v2, v19 op_sel_hi:[1,0]
	v_pk_fma_f16 v4, v17, s30, v51 op_sel_hi:[0,1,1]
	v_pk_add_f16 v2, v4, v2
	v_pk_fma_f16 v4, v20, s34, v52 op_sel_hi:[0,1,1]
	v_pk_add_f16 v2, v4, v2
	;; [unrolled: 2-line block ×4, first 2 shown]
	v_pk_fma_f16 v4, v57, s40, v60 op_sel_hi:[0,1,1]
	v_pk_fma_f16 v3, v15, s17, v3 op_sel_hi:[0,1,1]
	v_pk_add_f16 v2, v4, v2
	v_pk_fma_f16 v4, v17, s19, v18 op_sel_hi:[0,1,1]
	v_pk_add_f16 v3, v3, v19 op_sel_hi:[1,0]
	v_pk_add_f16 v3, v4, v3
	v_pk_fma_f16 v4, v20, s22, v21 op_sel_hi:[0,1,1]
	v_pk_add_f16 v3, v4, v3
	v_pk_fma_f16 v4, v40, s26, v41 op_sel_hi:[0,1,1]
	;; [unrolled: 2-line block ×4, first 2 shown]
	ds_write_b128 v55, v[11:14] offset:2
	v_pk_add_f16 v14, v4, v3
	v_alignbit_b32 v2, v2, v2, 16
	v_alignbit_b32 v3, v14, v14, 16
	ds_write_b64 v55, v[2:3] offset:18
	v_lshl_add_u32 v2, v6, 1, v39
	s_movk_i32 s0, 0xffe8
	s_waitcnt lgkmcnt(0)
	s_barrier
	v_lshl_add_u32 v4, v8, 1, v39
	v_lshl_add_u32 v11, v10, 1, v39
	;; [unrolled: 1-line block ×3, first 2 shown]
	v_mad_i32_i24 v3, v6, s0, v55
	ds_read_u16 v20, v2
	ds_read_u16 v45, v3 offset:338
	ds_read_u16 v41, v3 offset:416
	;; [unrolled: 1-line block ×4, first 2 shown]
	ds_read_u16 v17, v12
	ds_read_u16 v47, v3 offset:754
	ds_read_u16 v54, v3 offset:676
	;; [unrolled: 1-line block ×3, first 2 shown]
	ds_read_u16 v18, v11
	ds_read_u16 v21, v4
	ds_read_u16 v43, v3 offset:910
	v_cmp_gt_u32_e64 s[0:1], 13, v6
	v_lshlrev_b32_e32 v13, 1, v59
	v_lshlrev_b32_e32 v15, 1, v7
                                        ; implicit-def: $vgpr51
                                        ; implicit-def: $vgpr52
	s_and_saveexec_b64 s[4:5], s[0:1]
	s_cbranch_execz .LBB0_14
; %bb.13:
	v_add3_u32 v14, 0, v15, v13
	ds_read_u16 v52, v3 offset:650
	ds_read_u16 v14, v14
	ds_read_u16 v51, v3 offset:988
.LBB0_14:
	s_or_b64 exec, exec, s[4:5]
	v_sub_f16_e32 v36, v16, v36
	v_add_f16_sdwa v56, v31, v19 dst_sel:DWORD dst_unused:UNUSED_PAD src0_sel:DWORD src1_sel:WORD_1
	v_add_f16_e32 v31, v31, v53
	v_sub_f16_e32 v32, v22, v32
	v_pk_mul_f16 v16, v36, s17 op_sel_hi:[0,1]
	v_add_f16_e32 v56, v33, v56
	v_add_f16_e32 v33, v33, v50
	v_sub_f16_e32 v30, v23, v30
	v_pk_fma_f16 v22, v31, s6, v16 op_sel_hi:[0,1,1]
	v_pk_mul_f16 v23, v32, s19 op_sel_hi:[0,1]
	v_add_f16_e32 v56, v34, v56
	v_sub_f16_e32 v26, v26, v27
	v_pk_add_f16 v22, v22, v19 op_sel:[0,1]
	v_pk_fma_f16 v27, v33, s7, v23 op_sel_hi:[0,1,1]
	v_add_f16_e32 v56, v35, v56
	v_add_f16_e32 v34, v34, v49
	v_pk_add_f16 v22, v27, v22
	v_pk_mul_f16 v27, v30, s22 op_sel_hi:[0,1]
	v_add_f16_e32 v56, v37, v56
	v_sub_f16_e32 v24, v24, v29
	v_add_f16_e32 v29, v37, v46
	v_pk_fma_f16 v37, v34, s10, v27 op_sel_hi:[0,1,1]
	v_add_f16_e32 v35, v35, v48
	v_pk_add_f16 v22, v37, v22
	v_pk_mul_f16 v37, v24, s26 op_sel_hi:[0,1]
	v_pk_fma_f16 v16, v31, s6, v16 op_sel_hi:[0,1,1] neg_lo:[0,0,1] neg_hi:[0,0,1]
	v_add_f16_e32 v56, v38, v56
	v_sub_f16_e32 v25, v25, v28
	v_add_f16_e32 v28, v38, v44
	v_pk_fma_f16 v38, v35, s14, v37 op_sel_hi:[0,1,1]
	v_pk_add_f16 v16, v16, v19 op_sel:[0,1]
	v_pk_fma_f16 v23, v33, s7, v23 op_sel_hi:[0,1,1] neg_lo:[0,0,1] neg_hi:[0,0,1]
	v_pk_add_f16 v22, v38, v22
	v_pk_mul_f16 v38, v25, s31 op_sel_hi:[0,1]
	v_pk_add_f16 v16, v23, v16
	v_pk_fma_f16 v23, v34, s10, v27 op_sel_hi:[0,1,1] neg_lo:[0,0,1] neg_hi:[0,0,1]
	v_add_f16_e32 v56, v44, v56
	v_pk_fma_f16 v44, v29, s18, v38 op_sel_hi:[0,1,1]
	v_pk_add_f16 v16, v23, v16
	v_pk_fma_f16 v23, v35, s14, v37 op_sel_hi:[0,1,1] neg_lo:[0,0,1] neg_hi:[0,0,1]
	v_pk_add_f16 v22, v44, v22
	v_pk_mul_f16 v44, v26, s46 op_sel_hi:[0,1]
	v_pk_add_f16 v16, v23, v16
	v_pk_fma_f16 v23, v29, s18, v38 op_sel_hi:[0,1,1] neg_lo:[0,0,1] neg_hi:[0,0,1]
	v_pk_add_f16 v16, v23, v16
	v_pk_fma_f16 v23, v28, s45, v44 op_sel_hi:[0,1,1] neg_lo:[0,0,1] neg_hi:[0,0,1]
	v_pk_mul_f16 v27, v36, s27 op_sel_hi:[0,1]
	v_pk_add_f16 v16, v23, v16
	v_pk_fma_f16 v23, v31, s11, v27 op_sel_hi:[0,1,1]
	v_pk_mul_f16 v37, v32, s30 op_sel_hi:[0,1]
	v_pk_add_f16 v23, v23, v19 op_sel:[0,1]
	v_pk_fma_f16 v38, v33, s15, v37 op_sel_hi:[0,1,1]
	v_pk_add_f16 v23, v38, v23
	v_pk_mul_f16 v38, v30, s34 op_sel_hi:[0,1]
	v_add_f16_e32 v56, v46, v56
	v_pk_fma_f16 v46, v28, s45, v44 op_sel_hi:[0,1,1]
	v_pk_fma_f16 v44, v34, s16, v38 op_sel_hi:[0,1,1]
	v_pk_add_f16 v23, v44, v23
	v_pk_mul_f16 v44, v24, s36 op_sel_hi:[0,1]
	v_pk_fma_f16 v27, v31, s11, v27 op_sel_hi:[0,1,1] neg_lo:[0,0,1] neg_hi:[0,0,1]
	v_pk_add_f16 v22, v46, v22
	v_pk_fma_f16 v46, v35, s20, v44 op_sel_hi:[0,1,1]
	v_pk_add_f16 v27, v27, v19 op_sel:[0,1]
	v_pk_fma_f16 v37, v33, s15, v37 op_sel_hi:[0,1,1] neg_lo:[0,0,1] neg_hi:[0,0,1]
	v_pk_add_f16 v23, v46, v23
	v_pk_mul_f16 v46, v25, s37 op_sel_hi:[0,1]
	v_pk_add_f16 v27, v37, v27
	v_pk_fma_f16 v37, v34, s16, v38 op_sel_hi:[0,1,1] neg_lo:[0,0,1] neg_hi:[0,0,1]
	v_add_f16_e32 v56, v48, v56
	v_pk_fma_f16 v48, v29, s23, v46 op_sel_hi:[0,1,1]
	v_pk_add_f16 v27, v37, v27
	v_pk_fma_f16 v37, v35, s20, v44 op_sel_hi:[0,1,1] neg_lo:[0,0,1] neg_hi:[0,0,1]
	v_pk_add_f16 v23, v48, v23
	v_pk_mul_f16 v48, v26, s40 op_sel_hi:[0,1]
	v_pk_add_f16 v27, v37, v27
	v_pk_fma_f16 v37, v29, s23, v46 op_sel_hi:[0,1,1] neg_lo:[0,0,1] neg_hi:[0,0,1]
	v_pk_add_f16 v27, v37, v27
	v_pk_fma_f16 v37, v28, s28, v48 op_sel_hi:[0,1,1] neg_lo:[0,0,1] neg_hi:[0,0,1]
	v_pk_mul_f16 v36, v36, s38 op_sel_hi:[0,1]
	v_pk_add_f16 v27, v37, v27
	v_pk_fma_f16 v37, v31, s21, v36 op_sel_hi:[0,1,1]
	v_pk_mul_f16 v32, v32, s39 op_sel_hi:[0,1]
	v_pk_add_f16 v37, v37, v19 op_sel:[0,1]
	v_pk_fma_f16 v38, v33, s24, v32 op_sel_hi:[0,1,1]
	v_pk_mul_f16 v30, v30, s41 op_sel_hi:[0,1]
	v_pk_fma_f16 v31, v31, s21, v36 op_sel_hi:[0,1,1] neg_lo:[0,0,1] neg_hi:[0,0,1]
	v_pk_add_f16 v37, v38, v37
	v_pk_fma_f16 v38, v34, s25, v30 op_sel_hi:[0,1,1]
	v_pk_add_f16 v19, v31, v19 op_sel:[0,1]
	v_pk_fma_f16 v31, v33, s24, v32 op_sel_hi:[0,1,1] neg_lo:[0,0,1] neg_hi:[0,0,1]
	v_pk_add_f16 v37, v38, v37
	v_pk_mul_f16 v38, v24, s42 op_sel_hi:[0,1]
	v_pk_add_f16 v19, v31, v19
	v_pk_fma_f16 v30, v34, s25, v30 op_sel_hi:[0,1,1] neg_lo:[0,0,1] neg_hi:[0,0,1]
	v_pk_fma_f16 v24, v35, s29, v38 op_sel_hi:[0,1,1]
	v_pk_mul_f16 v25, v25, s43 op_sel_hi:[0,1]
	v_pk_add_f16 v19, v30, v19
	v_pk_fma_f16 v30, v35, s29, v38 op_sel_hi:[0,1,1] neg_lo:[0,0,1] neg_hi:[0,0,1]
	v_pk_add_f16 v24, v24, v37
	v_pk_fma_f16 v37, v29, s33, v25 op_sel_hi:[0,1,1]
	v_pk_mul_f16 v26, v26, s44 op_sel_hi:[0,1]
	v_pk_add_f16 v19, v30, v19
	v_pk_fma_f16 v25, v29, s33, v25 op_sel_hi:[0,1,1] neg_lo:[0,0,1] neg_hi:[0,0,1]
	v_pk_add_f16 v19, v25, v19
	v_pk_fma_f16 v25, v28, s35, v26 op_sel_hi:[0,1,1] neg_lo:[0,0,1] neg_hi:[0,0,1]
	v_add_f16_e32 v56, v49, v56
	v_pk_fma_f16 v49, v28, s28, v48 op_sel_hi:[0,1,1]
	v_pk_add_f16 v24, v37, v24
	v_pk_fma_f16 v37, v28, s35, v26 op_sel_hi:[0,1,1]
	v_pk_add_f16 v19, v25, v19
	v_add_f16_e32 v56, v50, v56
	v_pk_add_f16 v23, v49, v23
	v_pk_add_f16 v24, v37, v24
	v_alignbit_b32 v25, v19, v19, 16
	v_add_f16_e32 v56, v53, v56
	s_waitcnt lgkmcnt(0)
	s_barrier
	ds_write_b128 v55, v[22:25] offset:2
	v_alignbit_b32 v22, v27, v27, 16
	v_alignbit_b32 v23, v16, v16, 16
	ds_write_b16 v55, v56
	ds_write_b64 v55, v[22:23] offset:18
	s_waitcnt lgkmcnt(0)
	s_barrier
	ds_read_u16 v23, v2
	ds_read_u16 v28, v3 offset:338
	ds_read_u16 v27, v3 offset:416
	;; [unrolled: 1-line block ×5, first 2 shown]
	ds_read_u16 v22, v11
	ds_read_u16 v19, v12
	ds_read_u16 v34, v3 offset:676
	ds_read_u16 v29, v3 offset:572
	ds_read_u16 v24, v4
	ds_read_u16 v30, v3 offset:910
                                        ; implicit-def: $vgpr32
                                        ; implicit-def: $vgpr33
	s_and_saveexec_b64 s[4:5], s[0:1]
	s_cbranch_execz .LBB0_16
; %bb.15:
	v_add3_u32 v16, 0, v15, v13
	ds_read_u16 v33, v3 offset:650
	ds_read_u16 v16, v16
	ds_read_u16 v32, v3 offset:988
.LBB0_16:
	s_or_b64 exec, exec, s[4:5]
	s_movk_i32 s4, 0x4f
	v_mul_lo_u16_sdwa v36, v8, s4 dst_sel:DWORD dst_unused:UNUSED_PAD src0_sel:BYTE_0 src1_sel:DWORD
	v_mul_lo_u16_sdwa v35, v6, s4 dst_sel:DWORD dst_unused:UNUSED_PAD src0_sel:BYTE_0 src1_sel:DWORD
	v_lshrrev_b16_e32 v53, 10, v36
	v_lshrrev_b16_e32 v50, 10, v35
	v_mul_lo_u16_e32 v36, 13, v53
	v_mul_lo_u16_e32 v35, 13, v50
	v_sub_u16_e32 v48, v8, v36
	v_mul_lo_u16_sdwa v36, v10, s4 dst_sel:DWORD dst_unused:UNUSED_PAD src0_sel:BYTE_0 src1_sel:DWORD
	v_sub_u16_e32 v44, v6, v35
	v_mov_b32_e32 v46, 3
	v_lshrrev_b16_e32 v59, 10, v36
	v_mul_lo_u16_sdwa v55, v9, s4 dst_sel:DWORD dst_unused:UNUSED_PAD src0_sel:BYTE_0 src1_sel:DWORD
	v_lshlrev_b32_sdwa v35, v46, v44 dst_sel:DWORD dst_unused:UNUSED_PAD src0_sel:DWORD src1_sel:BYTE_0
	v_lshlrev_b32_sdwa v8, v46, v48 dst_sel:DWORD dst_unused:UNUSED_PAD src0_sel:DWORD src1_sel:BYTE_0
	v_mul_lo_u16_e32 v37, 13, v59
	v_lshrrev_b16_e32 v60, 10, v55
	global_load_dwordx2 v[35:36], v35, s[8:9]
	v_sub_u16_e32 v49, v10, v37
	global_load_dwordx2 v[37:38], v8, s[8:9]
	v_mul_lo_u16_e32 v8, 13, v60
	v_sub_u16_e32 v61, v9, v8
	v_lshlrev_b32_sdwa v8, v46, v61 dst_sel:DWORD dst_unused:UNUSED_PAD src0_sel:DWORD src1_sel:BYTE_0
	global_load_dwordx2 v[55:56], v8, s[8:9]
	v_mul_lo_u16_sdwa v8, v7, s4 dst_sel:DWORD dst_unused:UNUSED_PAD src0_sel:BYTE_0 src1_sel:DWORD
	v_lshrrev_b16_e32 v8, 10, v8
	v_mul_lo_u16_e32 v8, 13, v8
	v_sub_u16_e32 v8, v7, v8
	v_lshlrev_b32_sdwa v10, v46, v49 dst_sel:DWORD dst_unused:UNUSED_PAD src0_sel:DWORD src1_sel:BYTE_0
	v_lshlrev_b32_sdwa v7, v46, v8 dst_sel:DWORD dst_unused:UNUSED_PAD src0_sel:DWORD src1_sel:BYTE_0
	global_load_dwordx2 v[9:10], v10, s[8:9]
	s_movk_i32 s6, 0x3aee
	global_load_dwordx2 v[57:58], v7, s[8:9]
	v_mov_b32_e32 v7, 1
	v_lshlrev_b32_sdwa v62, v7, v44 dst_sel:DWORD dst_unused:UNUSED_PAD src0_sel:DWORD src1_sel:BYTE_0
	v_lshlrev_b32_sdwa v64, v7, v49 dst_sel:DWORD dst_unused:UNUSED_PAD src0_sel:DWORD src1_sel:BYTE_0
	;; [unrolled: 1-line block ×3, first 2 shown]
	s_mov_b32 s7, 0xbaee
	s_movk_i32 s4, 0x4e
	s_waitcnt vmcnt(0) lgkmcnt(0)
	s_barrier
	v_lshlrev_b32_sdwa v61, v7, v61 dst_sel:DWORD dst_unused:UNUSED_PAD src0_sel:DWORD src1_sel:BYTE_0
	v_mul_f16_sdwa v44, v28, v35 dst_sel:DWORD dst_unused:UNUSED_PAD src0_sel:DWORD src1_sel:WORD_1
	v_mul_f16_sdwa v46, v45, v35 dst_sel:DWORD dst_unused:UNUSED_PAD src0_sel:DWORD src1_sel:WORD_1
	;; [unrolled: 1-line block ×7, first 2 shown]
	v_fma_f16 v44, v45, v35, -v44
	v_mul_f16_sdwa v65, v54, v36 dst_sel:DWORD dst_unused:UNUSED_PAD src0_sel:DWORD src1_sel:WORD_1
	v_mul_f16_sdwa v74, v29, v55 dst_sel:DWORD dst_unused:UNUSED_PAD src0_sel:DWORD src1_sel:WORD_1
	v_fma_f16 v48, v28, v35, v46
	v_fma_f16 v45, v54, v36, -v49
	v_fma_f16 v35, v41, v37, -v66
	v_mul_f16_sdwa v70, v25, v9 dst_sel:DWORD dst_unused:UNUSED_PAD src0_sel:DWORD src1_sel:WORD_1
	v_mul_f16_sdwa v71, v39, v9 dst_sel:DWORD dst_unused:UNUSED_PAD src0_sel:DWORD src1_sel:WORD_1
	;; [unrolled: 1-line block ×5, first 2 shown]
	v_fma_f16 v41, v27, v37, v67
	v_fma_f16 v37, v47, v38, -v68
	v_fma_f16 v46, v31, v38, v69
	v_fma_f16 v31, v39, v9, -v70
	v_fma_f16 v28, v32, v58, v81
	v_add_f16_e32 v32, v20, v44
	v_mul_f16_sdwa v73, v40, v10 dst_sel:DWORD dst_unused:UNUSED_PAD src0_sel:DWORD src1_sel:WORD_1
	v_mul_f16_sdwa v75, v42, v55 dst_sel:DWORD dst_unused:UNUSED_PAD src0_sel:DWORD src1_sel:WORD_1
	;; [unrolled: 1-line block ×3, first 2 shown]
	v_fma_f16 v49, v34, v36, v65
	v_fma_f16 v36, v25, v9, v71
	v_fma_f16 v34, v40, v10, -v72
	v_fma_f16 v9, v42, v55, -v74
	v_add_f16_e32 v42, v35, v37
	v_add_f16_e32 v47, v32, v45
	;; [unrolled: 1-line block ×3, first 2 shown]
	v_mul_f16_sdwa v76, v30, v56 dst_sel:DWORD dst_unused:UNUSED_PAD src0_sel:DWORD src1_sel:WORD_1
	v_mul_f16_sdwa v78, v33, v57 dst_sel:DWORD dst_unused:UNUSED_PAD src0_sel:DWORD src1_sel:WORD_1
	v_fma_f16 v38, v26, v10, v73
	v_fma_f16 v27, v33, v57, v79
	v_add_f16_e32 v33, v44, v45
	v_add_f16_e32 v40, v21, v35
	v_fma_f16 v21, v42, -0.5, v21
	v_add_f16_e32 v42, v32, v34
	v_add_f16_e32 v32, v31, v34
	v_mul_f16_sdwa v77, v43, v56 dst_sel:DWORD dst_unused:UNUSED_PAD src0_sel:DWORD src1_sel:WORD_1
	v_fma_f16 v10, v43, v56, -v76
	v_sub_f16_e32 v39, v48, v49
	v_sub_f16_e32 v43, v41, v46
	v_fma_f16 v20, v33, -0.5, v20
	v_fma_f16 v18, v32, -0.5, v18
	v_sub_f16_e32 v32, v36, v38
	v_fma_f16 v33, v39, s6, v20
	v_fma_f16 v20, v39, s7, v20
	v_fma_f16 v39, v43, s6, v21
	v_fma_f16 v21, v43, s7, v21
	v_fma_f16 v43, v32, s6, v18
	v_fma_f16 v18, v32, s7, v18
	v_add_f16_e32 v32, v17, v9
	v_fma_f16 v29, v29, v55, v75
	v_fma_f16 v30, v30, v56, v77
	v_fma_f16 v26, v51, v58, -v80
	v_add_f16_e32 v51, v32, v10
	v_add_f16_e32 v32, v9, v10
	v_fma_f16 v17, v32, -0.5, v17
	v_sub_f16_e32 v32, v29, v30
	v_fma_f16 v25, v52, v57, -v78
	v_fma_f16 v52, v32, s6, v17
	v_fma_f16 v17, v32, s7, v17
	v_mad_u32_u24 v32, v50, s4, 0
	v_add3_u32 v32, v32, v62, v13
	ds_write_b16 v32, v47
	ds_write_b16 v32, v33 offset:26
	ds_write_b16 v32, v20 offset:52
	v_mad_u32_u24 v20, v53, s4, 0
	v_add_f16_e32 v40, v40, v37
	v_add3_u32 v33, v20, v63, v13
	v_mad_u32_u24 v20, v59, s4, 0
	ds_write_b16 v33, v40
	ds_write_b16 v33, v39 offset:26
	ds_write_b16 v33, v21 offset:52
	v_add3_u32 v39, v20, v64, v13
	ds_write_b16 v39, v42
	ds_write_b16 v39, v43 offset:26
	ds_write_b16 v39, v18 offset:52
	v_mad_u32_u24 v18, v60, s4, 0
	v_add3_u32 v40, v18, v61, v13
	ds_write_b16 v40, v51
	ds_write_b16 v40, v52 offset:26
	ds_write_b16 v40, v17 offset:52
	s_and_saveexec_b64 s[4:5], s[0:1]
	s_cbranch_execz .LBB0_18
; %bb.17:
	v_add_f16_e32 v17, v25, v26
	v_lshlrev_b32_sdwa v7, v7, v8 dst_sel:DWORD dst_unused:UNUSED_PAD src0_sel:DWORD src1_sel:BYTE_0
	v_fma_f16 v17, v17, -0.5, v14
	v_add_f16_e32 v14, v14, v25
	v_add3_u32 v7, 0, v7, v13
	v_sub_f16_e32 v18, v27, v28
	v_add_f16_e32 v14, v14, v26
	v_fma_f16 v20, v18, s7, v17
	v_fma_f16 v17, v18, s6, v17
	ds_write_b16 v7, v14 offset:936
	ds_write_b16 v7, v17 offset:962
	;; [unrolled: 1-line block ×3, first 2 shown]
.LBB0_18:
	s_or_b64 exec, exec, s[4:5]
	v_add_f16_e32 v7, v23, v48
	v_add_f16_e32 v42, v7, v49
	v_add_f16_e32 v7, v48, v49
	v_fma_f16 v7, v7, -0.5, v23
	v_sub_f16_e32 v14, v44, v45
	v_fma_f16 v43, v14, s7, v7
	v_fma_f16 v44, v14, s6, v7
	v_add_f16_e32 v7, v24, v41
	v_add_f16_e32 v45, v7, v46
	v_add_f16_e32 v7, v41, v46
	v_fma_f16 v7, v7, -0.5, v24
	v_sub_f16_e32 v14, v35, v37
	v_fma_f16 v35, v14, s7, v7
	v_fma_f16 v37, v14, s6, v7
	;; [unrolled: 7-line block ×4, first 2 shown]
	s_waitcnt lgkmcnt(0)
	s_barrier
	v_add3_u32 v29, 0, v15, v13
	ds_read_u16 v20, v11
	ds_read_u16 v18, v12
	;; [unrolled: 1-line block ×4, first 2 shown]
	ds_read_u16 v14, v3 offset:390
	ds_read_u16 v9, v3 offset:468
	;; [unrolled: 1-line block ×7, first 2 shown]
	ds_read_u16 v23, v4
	ds_read_u16 v24, v3 offset:936
	s_waitcnt lgkmcnt(0)
	s_barrier
	ds_write_b16 v32, v42
	ds_write_b16 v32, v43 offset:26
	ds_write_b16 v32, v44 offset:52
	ds_write_b16 v33, v45
	ds_write_b16 v33, v35 offset:26
	ds_write_b16 v33, v37 offset:52
	;; [unrolled: 3-line block ×4, first 2 shown]
	s_and_saveexec_b64 s[4:5], s[0:1]
	s_cbranch_execz .LBB0_20
; %bb.19:
	v_add_f16_e32 v30, v16, v27
	v_add_f16_e32 v27, v27, v28
	v_fma_f16 v16, v27, -0.5, v16
	v_sub_f16_e32 v25, v25, v26
	s_mov_b32 s0, 0xbaee
	v_fma_f16 v26, v25, s0, v16
	s_movk_i32 s0, 0x3aee
	v_fma_f16 v16, v25, s0, v16
	v_mov_b32_e32 v25, 1
	v_lshlrev_b32_sdwa v8, v25, v8 dst_sel:DWORD dst_unused:UNUSED_PAD src0_sel:DWORD src1_sel:BYTE_0
	v_add_f16_e32 v30, v30, v28
	v_add3_u32 v8, 0, v8, v13
	ds_write_b16 v8, v30 offset:936
	ds_write_b16 v8, v26 offset:962
	;; [unrolled: 1-line block ×3, first 2 shown]
.LBB0_20:
	s_or_b64 exec, exec, s[4:5]
	s_waitcnt lgkmcnt(0)
	s_barrier
	s_and_saveexec_b64 s[0:1], vcc
	s_cbranch_execz .LBB0_22
; %bb.21:
	v_mul_u32_u24_e32 v6, 12, v6
	v_lshlrev_b32_e32 v6, 2, v6
	global_load_dwordx4 v[25:28], v6, s[8:9] offset:104
	global_load_dwordx4 v[30:33], v6, s[8:9] offset:136
	global_load_dwordx4 v[34:37], v6, s[8:9] offset:120
	ds_read_u16 v6, v12
	ds_read_u16 v8, v29
	;; [unrolled: 1-line block ×4, first 2 shown]
	ds_read_u16 v12, v3 offset:936
	ds_read_u16 v13, v2
	ds_read_u16 v2, v3 offset:390
	ds_read_u16 v16, v3 offset:468
	;; [unrolled: 1-line block ×7, first 2 shown]
	s_mov_b32 s0, 0xbbc4
	s_movk_i32 s4, 0x3b15
	s_mov_b32 s1, 0xb9fd
	s_movk_i32 s5, 0x388b
	;; [unrolled: 2-line block ×3, first 2 shown]
	s_waitcnt vmcnt(2) lgkmcnt(9)
	v_mul_f16_sdwa v41, v4, v25 dst_sel:DWORD dst_unused:UNUSED_PAD src0_sel:DWORD src1_sel:WORD_1
	s_waitcnt vmcnt(1) lgkmcnt(8)
	v_mul_f16_sdwa v42, v12, v33 dst_sel:DWORD dst_unused:UNUSED_PAD src0_sel:DWORD src1_sel:WORD_1
	v_mul_f16_sdwa v43, v24, v33 dst_sel:DWORD dst_unused:UNUSED_PAD src0_sel:DWORD src1_sel:WORD_1
	;; [unrolled: 1-line block ×4, first 2 shown]
	s_waitcnt lgkmcnt(4)
	v_mul_f16_sdwa v46, v29, v32 dst_sel:DWORD dst_unused:UNUSED_PAD src0_sel:DWORD src1_sel:WORD_1
	v_mul_f16_sdwa v47, v22, v32 dst_sel:DWORD dst_unused:UNUSED_PAD src0_sel:DWORD src1_sel:WORD_1
	v_fma_f16 v23, v23, v25, -v41
	v_fma_f16 v24, v24, v33, -v42
	v_mul_f16_sdwa v48, v20, v26 dst_sel:DWORD dst_unused:UNUSED_PAD src0_sel:DWORD src1_sel:WORD_1
	v_mul_f16_sdwa v49, v6, v27 dst_sel:DWORD dst_unused:UNUSED_PAD src0_sel:DWORD src1_sel:WORD_1
	s_waitcnt lgkmcnt(3)
	v_mul_f16_sdwa v50, v38, v31 dst_sel:DWORD dst_unused:UNUSED_PAD src0_sel:DWORD src1_sel:WORD_1
	s_waitcnt vmcnt(0)
	v_mul_f16_sdwa v57, v2, v34 dst_sel:DWORD dst_unused:UNUSED_PAD src0_sel:DWORD src1_sel:WORD_1
	v_mul_f16_sdwa v60, v14, v34 dst_sel:DWORD dst_unused:UNUSED_PAD src0_sel:DWORD src1_sel:WORD_1
	v_fma_f16 v12, v33, v12, v43
	v_fma_f16 v4, v25, v4, v44
	v_fma_f16 v20, v20, v26, -v45
	v_fma_f16 v22, v22, v32, -v46
	v_fma_f16 v25, v32, v29, v47
	v_sub_f16_e32 v32, v23, v24
	v_mul_f16_sdwa v51, v21, v31 dst_sel:DWORD dst_unused:UNUSED_PAD src0_sel:DWORD src1_sel:WORD_1
	v_mul_f16_sdwa v52, v18, v27 dst_sel:DWORD dst_unused:UNUSED_PAD src0_sel:DWORD src1_sel:WORD_1
	;; [unrolled: 1-line block ×3, first 2 shown]
	s_waitcnt lgkmcnt(2)
	v_mul_f16_sdwa v54, v39, v30 dst_sel:DWORD dst_unused:UNUSED_PAD src0_sel:DWORD src1_sel:WORD_1
	v_mul_f16_sdwa v56, v15, v28 dst_sel:DWORD dst_unused:UNUSED_PAD src0_sel:DWORD src1_sel:WORD_1
	s_waitcnt lgkmcnt(1)
	v_mul_f16_sdwa v58, v40, v37 dst_sel:DWORD dst_unused:UNUSED_PAD src0_sel:DWORD src1_sel:WORD_1
	v_mul_f16_sdwa v59, v17, v37 dst_sel:DWORD dst_unused:UNUSED_PAD src0_sel:DWORD src1_sel:WORD_1
	v_fma_f16 v11, v26, v11, v48
	v_fma_f16 v18, v18, v27, -v49
	v_fma_f16 v21, v21, v31, -v50
	;; [unrolled: 1-line block ×3, first 2 shown]
	v_fma_f16 v29, v34, v2, v60
	v_add_f16_e32 v33, v4, v12
	v_sub_f16_e32 v34, v20, v22
	v_mul_f16_e32 v44, 0xb3a8, v32
	v_mul_f16_sdwa v55, v19, v30 dst_sel:DWORD dst_unused:UNUSED_PAD src0_sel:DWORD src1_sel:WORD_1
	v_fma_f16 v26, v31, v38, v51
	v_fma_f16 v6, v27, v6, v52
	v_fma_f16 v15, v15, v28, -v53
	v_fma_f16 v19, v19, v30, -v54
	v_fma_f16 v8, v28, v8, v56
	v_fma_f16 v17, v17, v37, -v58
	v_fma_f16 v28, v37, v40, v59
	v_add_f16_e32 v37, v11, v25
	v_sub_f16_e32 v38, v18, v21
	v_mul_f16_e32 v45, 0x3770, v34
	v_fma_f16 v2, v33, s0, v44
	v_mul_f16_sdwa v61, v16, v35 dst_sel:DWORD dst_unused:UNUSED_PAD src0_sel:DWORD src1_sel:WORD_1
	s_waitcnt lgkmcnt(0)
	v_mul_f16_sdwa v62, v3, v36 dst_sel:DWORD dst_unused:UNUSED_PAD src0_sel:DWORD src1_sel:WORD_1
	v_fma_f16 v27, v30, v39, v55
	v_add_f16_e32 v39, v6, v26
	v_sub_f16_e32 v40, v15, v19
	v_mul_f16_e32 v46, 0xb94e, v38
	v_fma_f16 v49, v37, s4, v45
	v_add_f16_e32 v2, v13, v2
	v_fma_f16 v30, v9, v35, -v61
	v_fma_f16 v31, v10, v36, -v62
	v_add_f16_e32 v41, v8, v27
	v_sub_f16_e32 v42, v14, v17
	v_mul_f16_e32 v47, 0x3a95, v40
	v_fma_f16 v50, v39, s1, v46
	v_add_f16_e32 v2, v2, v49
	v_mul_f16_sdwa v10, v10, v36 dst_sel:DWORD dst_unused:UNUSED_PAD src0_sel:DWORD src1_sel:WORD_1
	v_mul_f16_sdwa v9, v9, v35 dst_sel:DWORD dst_unused:UNUSED_PAD src0_sel:DWORD src1_sel:WORD_1
	v_add_f16_e32 v43, v29, v28
	v_mul_f16_e32 v48, 0xbb7b, v42
	v_fma_f16 v51, v41, s5, v47
	v_add_f16_e32 v2, v2, v50
	v_sub_f16_e32 v49, v30, v31
	v_fma_f16 v3, v36, v3, v10
	v_fma_f16 v9, v35, v16, v9
	;; [unrolled: 1-line block ×3, first 2 shown]
	v_add_f16_e32 v2, v2, v51
	v_mul_f16_e32 v50, 0x3bf1, v49
	v_add_f16_e32 v10, v9, v3
	v_add_f16_e32 v2, v2, v52
	v_fma_f16 v16, v10, s7, v50
	v_sub_f16_e32 v35, v4, v12
	v_add_f16_e32 v2, v2, v16
	v_add_f16_e32 v16, v23, v24
	v_mul_f16_e32 v36, 0xb3a8, v35
	v_sub_f16_e32 v53, v11, v25
	v_fma_f16 v51, v16, s0, -v36
	v_add_f16_e32 v52, v20, v22
	v_mul_f16_e32 v54, 0x3770, v53
	v_add_f16_e32 v51, v7, v51
	v_fma_f16 v55, v52, s4, -v54
	v_sub_f16_e32 v56, v6, v26
	v_add_f16_e32 v51, v51, v55
	v_add_f16_e32 v55, v18, v21
	v_mul_f16_e32 v57, 0xb94e, v56
	v_fma_f16 v58, v55, s1, -v57
	v_sub_f16_e32 v59, v8, v27
	v_add_f16_e32 v51, v51, v58
	v_add_f16_e32 v58, v15, v19
	v_mul_f16_e32 v60, 0x3a95, v59
	;; [unrolled: 5-line block ×4, first 2 shown]
	v_fma_f16 v67, v64, s7, -v66
	v_add_f16_e32 v51, v51, v67
	v_mul_f16_e32 v67, 0xb94e, v32
	v_fma_f16 v68, v33, s1, v67
	v_mul_f16_e32 v69, 0x3bf1, v34
	v_add_f16_e32 v68, v13, v68
	v_fma_f16 v70, v37, s7, v69
	v_add_f16_e32 v68, v68, v70
	v_mul_f16_e32 v70, 0xba95, v38
	v_fma_f16 v71, v39, s5, v70
	v_add_f16_e32 v68, v68, v71
	v_mul_f16_e32 v71, 0x33a8, v40
	;; [unrolled: 3-line block ×5, first 2 shown]
	v_fma_f16 v75, v16, s1, -v74
	v_mul_f16_e32 v76, 0x3bf1, v53
	v_add_f16_e32 v75, v7, v75
	v_fma_f16 v77, v52, s7, -v76
	v_add_f16_e32 v75, v75, v77
	v_mul_f16_e32 v77, 0xba95, v56
	v_fma_f16 v78, v55, s5, -v77
	v_add_f16_e32 v75, v75, v78
	v_mul_f16_e32 v78, 0x33a8, v59
	v_fma_f16 v79, v58, s0, -v78
	v_add_f16_e32 v4, v4, v13
	v_add_f16_e32 v75, v75, v79
	v_mul_f16_e32 v79, 0x3770, v62
	v_add_f16_e32 v4, v4, v11
	v_fma_f16 v80, v61, s4, -v79
	v_add_f16_e32 v4, v4, v6
	v_add_f16_e32 v75, v75, v80
	v_mul_f16_e32 v80, 0xbb7b, v65
	v_add_f16_e32 v4, v4, v8
	;; [unrolled: 5-line block ×3, first 2 shown]
	v_fma_f16 v82, v33, s6, v81
	v_mul_f16_e32 v83, 0x394e, v34
	v_add_f16_e32 v3, v4, v3
	v_add_f16_e32 v82, v13, v82
	v_fma_f16 v84, v37, s1, v83
	v_add_f16_e32 v3, v28, v3
	v_add_f16_e32 v82, v82, v84
	v_mul_f16_e32 v84, 0x3770, v38
	v_add_f16_e32 v3, v27, v3
	v_fma_f16 v85, v39, s4, v84
	v_add_f16_e32 v3, v26, v3
	v_add_f16_e32 v82, v82, v85
	v_mul_f16_e32 v85, 0xbbf1, v40
	v_add_f16_e32 v3, v25, v3
	v_fma_f16 v86, v41, s7, v85
	v_add_f16_e32 v8, v12, v3
	v_fma_f16 v3, v33, s0, -v44
	v_add_f16_e32 v82, v82, v86
	v_mul_f16_e32 v86, 0x33a8, v42
	v_add_f16_e32 v3, v13, v3
	v_fma_f16 v4, v37, s4, -v45
	v_fma_f16 v87, v43, s0, v86
	v_add_f16_e32 v3, v3, v4
	v_fma_f16 v4, v39, s1, -v46
	v_add_f16_e32 v82, v82, v87
	v_mul_f16_e32 v87, 0x3a95, v49
	v_add_f16_e32 v3, v3, v4
	v_fma_f16 v4, v41, s5, -v47
	;; [unrolled: 7-line block ×3, first 2 shown]
	v_fma_f16 v89, v16, s6, -v88
	v_mul_f16_e32 v90, 0x394e, v53
	v_add_f16_e32 v9, v3, v4
	v_fma_f16 v3, v16, s0, v36
	v_add_f16_e32 v89, v7, v89
	v_fma_f16 v91, v52, s1, -v90
	v_add_f16_e32 v3, v7, v3
	v_fma_f16 v4, v52, s4, v54
	v_add_f16_e32 v89, v89, v91
	v_mul_f16_e32 v91, 0x3770, v56
	v_add_f16_e32 v3, v3, v4
	v_fma_f16 v4, v55, s1, v57
	v_fma_f16 v92, v55, s4, -v91
	v_add_f16_e32 v3, v3, v4
	v_fma_f16 v4, v58, s5, v60
	v_add_f16_e32 v89, v89, v92
	v_mul_f16_e32 v92, 0xbbf1, v59
	v_add_f16_e32 v3, v3, v4
	v_fma_f16 v4, v61, s6, v63
	v_fma_f16 v93, v58, s7, -v92
	v_add_f16_e32 v3, v3, v4
	v_fma_f16 v4, v64, s7, v66
	v_add_f16_e32 v89, v89, v93
	v_mul_f16_e32 v93, 0x33a8, v62
	v_add_f16_e32 v11, v3, v4
	v_fma_f16 v3, v33, s1, -v67
	v_fma_f16 v94, v61, s0, -v93
	v_add_f16_e32 v3, v13, v3
	v_fma_f16 v4, v37, s7, -v69
	v_add_f16_e32 v89, v89, v94
	v_mul_f16_e32 v94, 0x3a95, v65
	v_add_f16_e32 v3, v3, v4
	v_fma_f16 v4, v39, s5, -v70
	v_fma_f16 v95, v64, s5, -v94
	v_add_f16_e32 v3, v3, v4
	v_fma_f16 v4, v41, s0, -v71
	v_add_f16_e32 v89, v89, v95
	v_mul_f16_e32 v95, 0xbbf1, v32
	v_add_f16_e32 v3, v3, v4
	v_fma_f16 v4, v43, s4, -v72
	v_fma_f16 v96, v33, s7, v95
	v_mul_f16_e32 v97, 0xb3a8, v34
	v_add_f16_e32 v3, v3, v4
	v_fma_f16 v4, v10, s6, -v73
	v_add_f16_e32 v96, v13, v96
	v_fma_f16 v98, v37, s0, v97
	v_add_f16_e32 v12, v3, v4
	v_fma_f16 v3, v16, s1, v74
	v_add_f16_e32 v96, v96, v98
	v_mul_f16_e32 v98, 0x3b7b, v38
	v_add_f16_e32 v3, v7, v3
	v_fma_f16 v4, v52, s7, v76
	v_fma_f16 v99, v39, s6, v98
	v_add_f16_e32 v23, v7, v23
	v_add_f16_e32 v3, v3, v4
	v_fma_f16 v4, v55, s5, v77
	v_add_f16_e32 v96, v96, v99
	v_mul_f16_e32 v99, 0x3770, v40
	v_add_f16_e32 v20, v23, v20
	v_add_f16_e32 v3, v3, v4
	v_fma_f16 v4, v58, s0, v78
	v_fma_f16 v100, v41, s4, v99
	v_add_f16_e32 v18, v20, v18
	v_add_f16_e32 v3, v3, v4
	v_fma_f16 v4, v61, s4, v79
	v_add_f16_e32 v96, v96, v100
	v_mul_f16_e32 v100, 0xba95, v42
	v_add_f16_e32 v15, v18, v15
	v_add_f16_e32 v3, v3, v4
	v_fma_f16 v4, v64, s6, v80
	v_fma_f16 v101, v43, s5, v100
	v_add_f16_e32 v14, v15, v14
	v_add_f16_e32 v15, v3, v4
	v_fma_f16 v3, v33, s6, -v81
	v_add_f16_e32 v96, v96, v101
	v_mul_f16_e32 v101, 0xb94e, v49
	v_add_f16_e32 v3, v13, v3
	v_fma_f16 v4, v37, s1, -v83
	v_fma_f16 v102, v10, s1, v101
	v_add_f16_e32 v3, v3, v4
	v_fma_f16 v4, v39, s4, -v84
	v_add_f16_e32 v96, v96, v102
	v_mul_f16_e32 v102, 0xbbf1, v35
	v_add_f16_e32 v3, v3, v4
	v_fma_f16 v4, v41, s7, -v85
	v_fma_f16 v103, v16, s7, -v102
	v_mul_f16_e32 v104, 0xb3a8, v53
	v_add_f16_e32 v14, v14, v30
	v_add_f16_e32 v3, v3, v4
	v_fma_f16 v4, v43, s0, -v86
	v_add_f16_e32 v103, v7, v103
	v_fma_f16 v105, v52, s0, -v104
	v_add_f16_e32 v14, v14, v31
	v_add_f16_e32 v3, v3, v4
	v_fma_f16 v4, v10, s5, -v87
	v_add_f16_e32 v103, v103, v105
	v_mul_f16_e32 v105, 0x3b7b, v56
	v_add_f16_e32 v14, v17, v14
	v_add_f16_e32 v17, v3, v4
	v_fma_f16 v3, v16, s6, v88
	v_fma_f16 v106, v55, s6, -v105
	v_add_f16_e32 v3, v7, v3
	v_fma_f16 v4, v52, s1, v90
	v_add_f16_e32 v103, v103, v106
	v_mul_f16_e32 v106, 0x3770, v59
	v_add_f16_e32 v3, v3, v4
	v_fma_f16 v4, v55, s4, v91
	v_fma_f16 v107, v58, s4, -v106
	v_add_f16_e32 v3, v3, v4
	v_fma_f16 v4, v58, s7, v92
	v_add_f16_e32 v103, v103, v107
	v_mul_f16_e32 v107, 0xba95, v62
	v_add_f16_e32 v3, v3, v4
	v_fma_f16 v4, v61, s0, v93
	v_fma_f16 v108, v61, s5, -v107
	v_add_f16_e32 v3, v3, v4
	v_fma_f16 v4, v64, s5, v94
	v_add_f16_e32 v103, v103, v108
	v_mul_f16_e32 v108, 0xb94e, v65
	v_add_f16_e32 v18, v3, v4
	v_fma_f16 v3, v33, s7, -v95
	v_fma_f16 v109, v64, s1, -v108
	v_add_f16_e32 v3, v13, v3
	v_fma_f16 v4, v37, s0, -v97
	v_add_f16_e32 v103, v103, v109
	v_mul_f16_e32 v109, 0xba95, v32
	v_add_f16_e32 v3, v3, v4
	v_fma_f16 v4, v39, s6, -v98
	v_fma_f16 v110, v33, s5, v109
	v_mul_f16_e32 v111, 0xbb7b, v34
	v_add_f16_e32 v3, v3, v4
	v_fma_f16 v4, v41, s4, -v99
	v_add_f16_e32 v110, v13, v110
	v_fma_f16 v112, v37, s6, v111
	v_add_f16_e32 v3, v3, v4
	v_fma_f16 v4, v43, s5, -v100
	v_add_f16_e32 v110, v110, v112
	v_mul_f16_e32 v112, 0xb3a8, v38
	v_add_f16_e32 v3, v3, v4
	v_fma_f16 v4, v10, s1, -v101
	v_fma_f16 v113, v39, s0, v112
	v_add_f16_e32 v14, v19, v14
	v_add_f16_e32 v19, v3, v4
	v_fma_f16 v3, v16, s7, v102
	v_add_f16_e32 v110, v110, v113
	v_mul_f16_e32 v113, 0x394e, v40
	v_add_f16_e32 v3, v7, v3
	v_fma_f16 v4, v52, s0, v104
	v_fma_f16 v114, v41, s1, v113
	v_add_f16_e32 v3, v3, v4
	v_fma_f16 v4, v55, s6, v105
	v_add_f16_e32 v110, v110, v114
	v_mul_f16_e32 v114, 0x3bf1, v42
	v_add_f16_e32 v3, v3, v4
	v_fma_f16 v4, v58, s4, v106
	v_fma_f16 v115, v43, s7, v114
	;; [unrolled: 7-line block ×3, first 2 shown]
	v_add_f16_e32 v20, v3, v4
	v_fma_f16 v3, v33, s5, -v109
	v_add_f16_e32 v110, v110, v116
	v_mul_f16_e32 v116, 0xba95, v35
	v_add_f16_e32 v3, v13, v3
	v_fma_f16 v4, v37, s6, -v111
	v_fma_f16 v117, v16, s5, -v116
	v_mul_f16_e32 v118, 0xbb7b, v53
	v_add_f16_e32 v3, v3, v4
	v_fma_f16 v4, v39, s0, -v112
	v_add_f16_e32 v117, v7, v117
	v_fma_f16 v119, v52, s6, -v118
	;; [unrolled: 2-line block ×3, first 2 shown]
	v_add_f16_e32 v117, v117, v119
	v_mul_f16_e32 v119, 0xb3a8, v56
	v_add_f16_e32 v3, v3, v4
	v_fma_f16 v4, v43, s7, -v114
	v_fma_f16 v120, v55, s0, -v119
	v_add_f16_e32 v3, v3, v4
	v_fma_f16 v4, v10, s4, -v115
	v_add_f16_e32 v117, v117, v120
	v_mul_f16_e32 v120, 0x394e, v59
	v_add_f16_e32 v14, v21, v14
	v_add_f16_e32 v21, v3, v4
	v_fma_f16 v3, v16, s5, v116
	v_fma_f16 v121, v58, s1, -v120
	v_add_f16_e32 v3, v7, v3
	v_fma_f16 v4, v52, s6, v118
	v_add_f16_e32 v117, v117, v121
	v_mul_f16_e32 v121, 0x3bf1, v62
	v_add_f16_e32 v3, v3, v4
	v_fma_f16 v4, v55, s0, v119
	v_fma_f16 v122, v61, s7, -v121
	v_add_f16_e32 v3, v3, v4
	v_fma_f16 v4, v58, s1, v120
	v_add_f16_e32 v117, v117, v122
	v_mul_f16_e32 v122, 0x3770, v65
	v_add_f16_e32 v3, v3, v4
	v_fma_f16 v4, v61, s7, v121
	v_mul_f16_e32 v32, 0xb770, v32
	v_add_f16_e32 v3, v3, v4
	v_fma_f16 v4, v64, s4, v122
	v_fma_f16 v123, v64, s4, -v122
	v_mul_f16_e32 v34, 0xba95, v34
	v_add_f16_e32 v14, v22, v14
	v_add_f16_e32 v22, v3, v4
	v_fma_f16 v3, v33, s4, -v32
	v_add_f16_e32 v117, v117, v123
	v_fma_f16 v123, v33, s4, v32
	v_mul_f16_e32 v38, 0xbbf1, v38
	v_add_f16_e32 v3, v13, v3
	v_fma_f16 v4, v37, s5, -v34
	v_add_f16_e32 v123, v13, v123
	v_fma_f16 v124, v37, s5, v34
	v_mul_f16_e32 v40, 0xbb7b, v40
	;; [unrolled: 5-line block ×6, first 2 shown]
	v_add_f16_e32 v10, v3, v4
	v_fma_f16 v3, v16, s4, v35
	v_mul_f16_e32 v56, 0xbbf1, v56
	v_add_f16_e32 v3, v7, v3
	v_fma_f16 v4, v52, s5, v53
	v_add_f16_e32 v3, v3, v4
	v_fma_f16 v4, v55, s7, v56
	v_add_f16_e32 v123, v123, v124
	v_fma_f16 v124, v16, s4, -v35
	v_fma_f16 v125, v52, s5, -v53
	v_add_f16_e32 v6, v3, v4
	v_mad_u64_u32 v[3:4], s[4:5], s2, v5, 0
	v_mul_f16_e32 v59, 0xbb7b, v59
	v_add_f16_e32 v124, v7, v124
	v_fma_f16 v7, v58, s6, v59
	v_add_f16_e32 v13, v6, v7
	v_mad_u64_u32 v[6:7], s[4:5], s3, v5, v[4:5]
	v_mul_f16_e32 v62, 0xb94e, v62
	v_mul_f16_e32 v65, 0xb3a8, v65
	v_fma_f16 v16, v61, s1, v62
	v_add_f16_e32 v124, v124, v125
	v_fma_f16 v125, v55, s7, -v56
	v_add_f16_e32 v4, v13, v16
	v_fma_f16 v7, v64, s0, v65
	v_add_f16_e32 v124, v124, v125
	v_fma_f16 v125, v58, s6, -v59
	v_add_f16_e32 v13, v4, v7
	v_mov_b32_e32 v4, v6
	v_mov_b32_e32 v6, s13
	v_add_co_u32_e32 v16, vcc, s12, v0
	v_add_f16_e32 v124, v124, v125
	v_fma_f16 v125, v61, s1, -v62
	v_addc_co_u32_e32 v23, vcc, v6, v1, vcc
	v_add_u32_e32 v6, 39, v5
	v_add_f16_e32 v124, v124, v125
	v_fma_f16 v125, v64, s0, -v65
	v_lshlrev_b64 v[0:1], 2, v[3:4]
	v_mad_u64_u32 v[3:4], s[0:1], s2, v6, 0
	v_add_f16_e32 v14, v24, v14
	v_add_u32_e32 v24, 0x4e, v5
	v_mad_u64_u32 v[6:7], s[0:1], s3, v6, v[4:5]
	v_pack_b32_f16 v14, v14, v8
	v_mad_u64_u32 v[7:8], s[0:1], s2, v24, 0
	v_add_co_u32_e32 v0, vcc, v16, v0
	v_addc_co_u32_e32 v1, vcc, v23, v1, vcc
	v_mov_b32_e32 v4, v6
	global_store_dword v[0:1], v14, off
	v_lshlrev_b64 v[0:1], 2, v[3:4]
	v_mov_b32_e32 v3, v8
	v_mad_u64_u32 v[3:4], s[0:1], s3, v24, v[3:4]
	v_add_f16_e32 v124, v124, v125
	v_add_co_u32_e32 v0, vcc, v16, v0
	v_addc_co_u32_e32 v1, vcc, v23, v1, vcc
	v_pack_b32_f16 v4, v124, v123
	v_add_u32_e32 v6, 0x75, v5
	global_store_dword v[0:1], v4, off
	v_mov_b32_e32 v8, v3
	v_mad_u64_u32 v[3:4], s[0:1], s2, v6, 0
	v_lshlrev_b64 v[0:1], 2, v[7:8]
	v_add_u32_e32 v24, 0x9c, v5
	v_mad_u64_u32 v[6:7], s[0:1], s3, v6, v[4:5]
	v_mad_u64_u32 v[7:8], s[0:1], s2, v24, 0
	v_add_co_u32_e32 v0, vcc, v16, v0
	v_addc_co_u32_e32 v1, vcc, v23, v1, vcc
	v_pack_b32_f16 v14, v117, v110
	v_mov_b32_e32 v4, v6
	global_store_dword v[0:1], v14, off
	v_lshlrev_b64 v[0:1], 2, v[3:4]
	v_mov_b32_e32 v3, v8
	v_mad_u64_u32 v[3:4], s[0:1], s3, v24, v[3:4]
	v_add_co_u32_e32 v0, vcc, v16, v0
	v_addc_co_u32_e32 v1, vcc, v23, v1, vcc
	v_pack_b32_f16 v4, v103, v96
	v_add_u32_e32 v6, 0xc3, v5
	global_store_dword v[0:1], v4, off
	v_mov_b32_e32 v8, v3
	v_mad_u64_u32 v[3:4], s[0:1], s2, v6, 0
	v_lshlrev_b64 v[0:1], 2, v[7:8]
	v_add_u32_e32 v24, 0xea, v5
	v_mad_u64_u32 v[6:7], s[0:1], s3, v6, v[4:5]
	v_mad_u64_u32 v[7:8], s[0:1], s2, v24, 0
	v_add_co_u32_e32 v0, vcc, v16, v0
	v_addc_co_u32_e32 v1, vcc, v23, v1, vcc
	v_pack_b32_f16 v14, v89, v82
	v_mov_b32_e32 v4, v6
	global_store_dword v[0:1], v14, off
	v_lshlrev_b64 v[0:1], 2, v[3:4]
	v_mov_b32_e32 v3, v8
	v_mad_u64_u32 v[3:4], s[0:1], s3, v24, v[3:4]
	v_add_co_u32_e32 v0, vcc, v16, v0
	v_addc_co_u32_e32 v1, vcc, v23, v1, vcc
	v_pack_b32_f16 v4, v75, v68
	v_add_u32_e32 v6, 0x111, v5
	global_store_dword v[0:1], v4, off
	v_mov_b32_e32 v8, v3
	v_mad_u64_u32 v[3:4], s[0:1], s2, v6, 0
	v_pack_b32_f16 v14, v51, v2
	v_lshlrev_b64 v[0:1], 2, v[7:8]
	v_mov_b32_e32 v2, v4
	v_mad_u64_u32 v[6:7], s[0:1], s3, v6, v[2:3]
	v_add_u32_e32 v24, 0x138, v5
	v_mad_u64_u32 v[7:8], s[0:1], s2, v24, 0
	v_add_co_u32_e32 v0, vcc, v16, v0
	v_addc_co_u32_e32 v1, vcc, v23, v1, vcc
	v_mov_b32_e32 v4, v6
	v_mov_b32_e32 v2, v8
	global_store_dword v[0:1], v14, off
	v_lshlrev_b64 v[0:1], 2, v[3:4]
	v_mad_u64_u32 v[2:3], s[0:1], s3, v24, v[2:3]
	v_add_co_u32_e32 v0, vcc, v16, v0
	v_addc_co_u32_e32 v1, vcc, v23, v1, vcc
	v_pack_b32_f16 v3, v11, v9
	v_add_u32_e32 v4, 0x15f, v5
	global_store_dword v[0:1], v3, off
	v_mov_b32_e32 v8, v2
	v_mad_u64_u32 v[2:3], s[0:1], s2, v4, 0
	v_lshlrev_b64 v[0:1], 2, v[7:8]
	v_pack_b32_f16 v8, v15, v12
	v_mad_u64_u32 v[3:4], s[0:1], s3, v4, v[3:4]
	v_add_u32_e32 v4, 0x186, v5
	v_mad_u64_u32 v[6:7], s[0:1], s2, v4, 0
	v_add_co_u32_e32 v0, vcc, v16, v0
	v_addc_co_u32_e32 v1, vcc, v23, v1, vcc
	global_store_dword v[0:1], v8, off
	v_lshlrev_b64 v[0:1], 2, v[2:3]
	v_mov_b32_e32 v2, v7
	v_mad_u64_u32 v[2:3], s[0:1], s3, v4, v[2:3]
	v_add_co_u32_e32 v0, vcc, v16, v0
	v_addc_co_u32_e32 v1, vcc, v23, v1, vcc
	v_pack_b32_f16 v3, v18, v17
	v_add_u32_e32 v4, 0x1ad, v5
	global_store_dword v[0:1], v3, off
	v_mov_b32_e32 v7, v2
	v_mad_u64_u32 v[2:3], s[0:1], s2, v4, 0
	v_lshlrev_b64 v[0:1], 2, v[6:7]
	v_add_u32_e32 v7, 0x1d4, v5
	v_mad_u64_u32 v[3:4], s[0:1], s3, v4, v[3:4]
	v_mad_u64_u32 v[4:5], s[0:1], s2, v7, 0
	v_add_co_u32_e32 v0, vcc, v16, v0
	v_addc_co_u32_e32 v1, vcc, v23, v1, vcc
	v_pack_b32_f16 v6, v20, v19
	global_store_dword v[0:1], v6, off
	v_lshlrev_b64 v[0:1], 2, v[2:3]
	v_mov_b32_e32 v2, v5
	v_mad_u64_u32 v[2:3], s[0:1], s3, v7, v[2:3]
	v_add_co_u32_e32 v0, vcc, v16, v0
	v_addc_co_u32_e32 v1, vcc, v23, v1, vcc
	v_pack_b32_f16 v3, v22, v21
	v_mov_b32_e32 v5, v2
	global_store_dword v[0:1], v3, off
	v_lshlrev_b64 v[0:1], 2, v[4:5]
	v_pack_b32_f16 v2, v13, v10
	v_add_co_u32_e32 v0, vcc, v16, v0
	v_addc_co_u32_e32 v1, vcc, v23, v1, vcc
	global_store_dword v[0:1], v2, off
.LBB0_22:
	s_endpgm
	.section	.rodata,"a",@progbits
	.p2align	6, 0x0
	.amdhsa_kernel fft_rtc_fwd_len507_factors_13_3_13_wgs_117_tpt_39_halfLds_half_ip_CI_sbrr_dirReg
		.amdhsa_group_segment_fixed_size 0
		.amdhsa_private_segment_fixed_size 0
		.amdhsa_kernarg_size 88
		.amdhsa_user_sgpr_count 6
		.amdhsa_user_sgpr_private_segment_buffer 1
		.amdhsa_user_sgpr_dispatch_ptr 0
		.amdhsa_user_sgpr_queue_ptr 0
		.amdhsa_user_sgpr_kernarg_segment_ptr 1
		.amdhsa_user_sgpr_dispatch_id 0
		.amdhsa_user_sgpr_flat_scratch_init 0
		.amdhsa_user_sgpr_private_segment_size 0
		.amdhsa_uses_dynamic_stack 0
		.amdhsa_system_sgpr_private_segment_wavefront_offset 0
		.amdhsa_system_sgpr_workgroup_id_x 1
		.amdhsa_system_sgpr_workgroup_id_y 0
		.amdhsa_system_sgpr_workgroup_id_z 0
		.amdhsa_system_sgpr_workgroup_info 0
		.amdhsa_system_vgpr_workitem_id 0
		.amdhsa_next_free_vgpr 126
		.amdhsa_next_free_sgpr 47
		.amdhsa_reserve_vcc 1
		.amdhsa_reserve_flat_scratch 0
		.amdhsa_float_round_mode_32 0
		.amdhsa_float_round_mode_16_64 0
		.amdhsa_float_denorm_mode_32 3
		.amdhsa_float_denorm_mode_16_64 3
		.amdhsa_dx10_clamp 1
		.amdhsa_ieee_mode 1
		.amdhsa_fp16_overflow 0
		.amdhsa_exception_fp_ieee_invalid_op 0
		.amdhsa_exception_fp_denorm_src 0
		.amdhsa_exception_fp_ieee_div_zero 0
		.amdhsa_exception_fp_ieee_overflow 0
		.amdhsa_exception_fp_ieee_underflow 0
		.amdhsa_exception_fp_ieee_inexact 0
		.amdhsa_exception_int_div_zero 0
	.end_amdhsa_kernel
	.text
.Lfunc_end0:
	.size	fft_rtc_fwd_len507_factors_13_3_13_wgs_117_tpt_39_halfLds_half_ip_CI_sbrr_dirReg, .Lfunc_end0-fft_rtc_fwd_len507_factors_13_3_13_wgs_117_tpt_39_halfLds_half_ip_CI_sbrr_dirReg
                                        ; -- End function
	.section	.AMDGPU.csdata,"",@progbits
; Kernel info:
; codeLenInByte = 9936
; NumSgprs: 51
; NumVgprs: 126
; ScratchSize: 0
; MemoryBound: 0
; FloatMode: 240
; IeeeMode: 1
; LDSByteSize: 0 bytes/workgroup (compile time only)
; SGPRBlocks: 6
; VGPRBlocks: 31
; NumSGPRsForWavesPerEU: 51
; NumVGPRsForWavesPerEU: 126
; Occupancy: 2
; WaveLimiterHint : 1
; COMPUTE_PGM_RSRC2:SCRATCH_EN: 0
; COMPUTE_PGM_RSRC2:USER_SGPR: 6
; COMPUTE_PGM_RSRC2:TRAP_HANDLER: 0
; COMPUTE_PGM_RSRC2:TGID_X_EN: 1
; COMPUTE_PGM_RSRC2:TGID_Y_EN: 0
; COMPUTE_PGM_RSRC2:TGID_Z_EN: 0
; COMPUTE_PGM_RSRC2:TIDIG_COMP_CNT: 0
	.type	__hip_cuid_99490414425b21c,@object ; @__hip_cuid_99490414425b21c
	.section	.bss,"aw",@nobits
	.globl	__hip_cuid_99490414425b21c
__hip_cuid_99490414425b21c:
	.byte	0                               ; 0x0
	.size	__hip_cuid_99490414425b21c, 1

	.ident	"AMD clang version 19.0.0git (https://github.com/RadeonOpenCompute/llvm-project roc-6.4.0 25133 c7fe45cf4b819c5991fe208aaa96edf142730f1d)"
	.section	".note.GNU-stack","",@progbits
	.addrsig
	.addrsig_sym __hip_cuid_99490414425b21c
	.amdgpu_metadata
---
amdhsa.kernels:
  - .args:
      - .actual_access:  read_only
        .address_space:  global
        .offset:         0
        .size:           8
        .value_kind:     global_buffer
      - .offset:         8
        .size:           8
        .value_kind:     by_value
      - .actual_access:  read_only
        .address_space:  global
        .offset:         16
        .size:           8
        .value_kind:     global_buffer
      - .actual_access:  read_only
        .address_space:  global
        .offset:         24
        .size:           8
        .value_kind:     global_buffer
      - .offset:         32
        .size:           8
        .value_kind:     by_value
      - .actual_access:  read_only
        .address_space:  global
        .offset:         40
        .size:           8
        .value_kind:     global_buffer
      - .actual_access:  read_only
        .address_space:  global
        .offset:         48
        .size:           8
        .value_kind:     global_buffer
      - .offset:         56
        .size:           4
        .value_kind:     by_value
      - .actual_access:  read_only
        .address_space:  global
        .offset:         64
        .size:           8
        .value_kind:     global_buffer
      - .actual_access:  read_only
        .address_space:  global
        .offset:         72
        .size:           8
        .value_kind:     global_buffer
      - .address_space:  global
        .offset:         80
        .size:           8
        .value_kind:     global_buffer
    .group_segment_fixed_size: 0
    .kernarg_segment_align: 8
    .kernarg_segment_size: 88
    .language:       OpenCL C
    .language_version:
      - 2
      - 0
    .max_flat_workgroup_size: 117
    .name:           fft_rtc_fwd_len507_factors_13_3_13_wgs_117_tpt_39_halfLds_half_ip_CI_sbrr_dirReg
    .private_segment_fixed_size: 0
    .sgpr_count:     51
    .sgpr_spill_count: 0
    .symbol:         fft_rtc_fwd_len507_factors_13_3_13_wgs_117_tpt_39_halfLds_half_ip_CI_sbrr_dirReg.kd
    .uniform_work_group_size: 1
    .uses_dynamic_stack: false
    .vgpr_count:     126
    .vgpr_spill_count: 0
    .wavefront_size: 64
amdhsa.target:   amdgcn-amd-amdhsa--gfx906
amdhsa.version:
  - 1
  - 2
...

	.end_amdgpu_metadata
